;; amdgpu-corpus repo=zjin-lcf/HeCBench kind=compiled arch=gfx1030 opt=O3
	.amdgcn_target "amdgcn-amd-amdhsa--gfx1030"
	.amdhsa_code_object_version 6
	.text
	.protected	_Z22add_kernel_interleavedP13INTERLEAVED_TPKS_j ; -- Begin function _Z22add_kernel_interleavedP13INTERLEAVED_TPKS_j
	.globl	_Z22add_kernel_interleavedP13INTERLEAVED_TPKS_j
	.p2align	8
	.type	_Z22add_kernel_interleavedP13INTERLEAVED_TPKS_j,@function
_Z22add_kernel_interleavedP13INTERLEAVED_TPKS_j: ; @_Z22add_kernel_interleavedP13INTERLEAVED_TPKS_j
; %bb.0:
	s_clause 0x1
	s_load_dword s0, s[4:5], 0x24
	s_load_dword s1, s[4:5], 0x10
	s_waitcnt lgkmcnt(0)
	s_and_b32 s0, s0, 0xffff
	v_mad_u64_u32 v[0:1], null, s6, s0, v[0:1]
	s_mov_b32 s0, exec_lo
	v_cmpx_gt_u32_e64 s1, v0
	s_cbranch_execz .LBB0_3
; %bb.1:
	s_load_dwordx4 s[0:3], s[4:5], 0x0
	v_mov_b32_e32 v1, 0
	v_lshlrev_b64 v[18:19], 6, v[0:1]
	s_waitcnt lgkmcnt(0)
	v_add_co_u32 v16, vcc_lo, s0, v18
	v_add_co_ci_u32_e64 v17, null, s1, v19, vcc_lo
	v_add_co_u32 v18, vcc_lo, s2, v18
	v_add_co_ci_u32_e64 v19, null, s3, v19, vcc_lo
	s_clause 0x3
	global_load_dwordx4 v[12:15], v[16:17], off
	global_load_dwordx4 v[8:11], v[16:17], off offset:16
	global_load_dwordx4 v[4:7], v[16:17], off offset:32
	global_load_dwordx4 v[0:3], v[16:17], off offset:48
	s_movk_i32 s0, 0x1000
.LBB0_2:                                ; =>This Inner Loop Header: Depth=1
	s_clause 0x3
	global_load_dwordx4 v[20:23], v[18:19], off
	global_load_dwordx4 v[24:27], v[18:19], off offset:16
	global_load_dwordx4 v[28:31], v[18:19], off offset:32
	;; [unrolled: 1-line block ×3, first 2 shown]
	s_add_i32 s0, s0, -2
	s_cmp_lg_u32 s0, 0
	s_waitcnt vmcnt(3)
	v_add_nc_u32_e32 v12, v12, v20
	v_add_nc_u32_e32 v13, v13, v21
	v_add_nc_u32_e32 v14, v14, v22
	v_add_nc_u32_e32 v15, v15, v23
	s_waitcnt vmcnt(2)
	v_add_nc_u32_e32 v8, v8, v24
	v_add_nc_u32_e32 v9, v9, v25
	v_add_nc_u32_e32 v10, v10, v26
	v_add_nc_u32_e32 v11, v11, v27
	;; [unrolled: 5-line block ×4, first 2 shown]
	global_store_dwordx4 v[16:17], v[12:15], off
	global_store_dwordx4 v[16:17], v[8:11], off offset:16
	global_store_dwordx4 v[16:17], v[4:7], off offset:32
	global_store_dwordx4 v[16:17], v[0:3], off offset:48
	s_clause 0x3
	global_load_dwordx4 v[20:23], v[18:19], off
	global_load_dwordx4 v[24:27], v[18:19], off offset:16
	global_load_dwordx4 v[28:31], v[18:19], off offset:32
	;; [unrolled: 1-line block ×3, first 2 shown]
	s_waitcnt vmcnt(3)
	v_add_nc_u32_e32 v12, v12, v20
	v_add_nc_u32_e32 v13, v13, v21
	v_add_nc_u32_e32 v14, v14, v22
	v_add_nc_u32_e32 v15, v15, v23
	s_waitcnt vmcnt(2)
	v_add_nc_u32_e32 v8, v8, v24
	v_add_nc_u32_e32 v9, v9, v25
	v_add_nc_u32_e32 v10, v10, v26
	v_add_nc_u32_e32 v11, v11, v27
	;; [unrolled: 5-line block ×4, first 2 shown]
	global_store_dwordx4 v[16:17], v[12:15], off
	global_store_dwordx4 v[16:17], v[8:11], off offset:16
	global_store_dwordx4 v[16:17], v[4:7], off offset:32
	;; [unrolled: 1-line block ×3, first 2 shown]
	s_cbranch_scc1 .LBB0_2
.LBB0_3:
	s_endpgm
	.section	.rodata,"a",@progbits
	.p2align	6, 0x0
	.amdhsa_kernel _Z22add_kernel_interleavedP13INTERLEAVED_TPKS_j
		.amdhsa_group_segment_fixed_size 0
		.amdhsa_private_segment_fixed_size 0
		.amdhsa_kernarg_size 280
		.amdhsa_user_sgpr_count 6
		.amdhsa_user_sgpr_private_segment_buffer 1
		.amdhsa_user_sgpr_dispatch_ptr 0
		.amdhsa_user_sgpr_queue_ptr 0
		.amdhsa_user_sgpr_kernarg_segment_ptr 1
		.amdhsa_user_sgpr_dispatch_id 0
		.amdhsa_user_sgpr_flat_scratch_init 0
		.amdhsa_user_sgpr_private_segment_size 0
		.amdhsa_wavefront_size32 1
		.amdhsa_uses_dynamic_stack 0
		.amdhsa_system_sgpr_private_segment_wavefront_offset 0
		.amdhsa_system_sgpr_workgroup_id_x 1
		.amdhsa_system_sgpr_workgroup_id_y 0
		.amdhsa_system_sgpr_workgroup_id_z 0
		.amdhsa_system_sgpr_workgroup_info 0
		.amdhsa_system_vgpr_workitem_id 0
		.amdhsa_next_free_vgpr 36
		.amdhsa_next_free_sgpr 7
		.amdhsa_reserve_vcc 1
		.amdhsa_reserve_flat_scratch 0
		.amdhsa_float_round_mode_32 0
		.amdhsa_float_round_mode_16_64 0
		.amdhsa_float_denorm_mode_32 3
		.amdhsa_float_denorm_mode_16_64 3
		.amdhsa_dx10_clamp 1
		.amdhsa_ieee_mode 1
		.amdhsa_fp16_overflow 0
		.amdhsa_workgroup_processor_mode 1
		.amdhsa_memory_ordered 1
		.amdhsa_forward_progress 1
		.amdhsa_shared_vgpr_count 0
		.amdhsa_exception_fp_ieee_invalid_op 0
		.amdhsa_exception_fp_denorm_src 0
		.amdhsa_exception_fp_ieee_div_zero 0
		.amdhsa_exception_fp_ieee_overflow 0
		.amdhsa_exception_fp_ieee_underflow 0
		.amdhsa_exception_fp_ieee_inexact 0
		.amdhsa_exception_int_div_zero 0
	.end_amdhsa_kernel
	.text
.Lfunc_end0:
	.size	_Z22add_kernel_interleavedP13INTERLEAVED_TPKS_j, .Lfunc_end0-_Z22add_kernel_interleavedP13INTERLEAVED_TPKS_j
                                        ; -- End function
	.set _Z22add_kernel_interleavedP13INTERLEAVED_TPKS_j.num_vgpr, 36
	.set _Z22add_kernel_interleavedP13INTERLEAVED_TPKS_j.num_agpr, 0
	.set _Z22add_kernel_interleavedP13INTERLEAVED_TPKS_j.numbered_sgpr, 7
	.set _Z22add_kernel_interleavedP13INTERLEAVED_TPKS_j.num_named_barrier, 0
	.set _Z22add_kernel_interleavedP13INTERLEAVED_TPKS_j.private_seg_size, 0
	.set _Z22add_kernel_interleavedP13INTERLEAVED_TPKS_j.uses_vcc, 1
	.set _Z22add_kernel_interleavedP13INTERLEAVED_TPKS_j.uses_flat_scratch, 0
	.set _Z22add_kernel_interleavedP13INTERLEAVED_TPKS_j.has_dyn_sized_stack, 0
	.set _Z22add_kernel_interleavedP13INTERLEAVED_TPKS_j.has_recursion, 0
	.set _Z22add_kernel_interleavedP13INTERLEAVED_TPKS_j.has_indirect_call, 0
	.section	.AMDGPU.csdata,"",@progbits
; Kernel info:
; codeLenInByte = 464
; TotalNumSgprs: 9
; NumVgprs: 36
; ScratchSize: 0
; MemoryBound: 1
; FloatMode: 240
; IeeeMode: 1
; LDSByteSize: 0 bytes/workgroup (compile time only)
; SGPRBlocks: 0
; VGPRBlocks: 4
; NumSGPRsForWavesPerEU: 9
; NumVGPRsForWavesPerEU: 36
; Occupancy: 16
; WaveLimiterHint : 0
; COMPUTE_PGM_RSRC2:SCRATCH_EN: 0
; COMPUTE_PGM_RSRC2:USER_SGPR: 6
; COMPUTE_PGM_RSRC2:TRAP_HANDLER: 0
; COMPUTE_PGM_RSRC2:TGID_X_EN: 1
; COMPUTE_PGM_RSRC2:TGID_Y_EN: 0
; COMPUTE_PGM_RSRC2:TGID_Z_EN: 0
; COMPUTE_PGM_RSRC2:TIDIG_COMP_CNT: 0
	.text
	.protected	_Z26add_kernel_non_interleavedP17NON_INTERLEAVED_TPKS_j ; -- Begin function _Z26add_kernel_non_interleavedP17NON_INTERLEAVED_TPKS_j
	.globl	_Z26add_kernel_non_interleavedP17NON_INTERLEAVED_TPKS_j
	.p2align	8
	.type	_Z26add_kernel_non_interleavedP17NON_INTERLEAVED_TPKS_j,@function
_Z26add_kernel_non_interleavedP17NON_INTERLEAVED_TPKS_j: ; @_Z26add_kernel_non_interleavedP17NON_INTERLEAVED_TPKS_j
; %bb.0:
	s_clause 0x1
	s_load_dword s0, s[4:5], 0x24
	s_load_dword s1, s[4:5], 0x10
	s_waitcnt lgkmcnt(0)
	s_and_b32 s0, s0, 0xffff
	v_mad_u64_u32 v[0:1], null, s6, s0, v[0:1]
	s_mov_b32 s0, exec_lo
	v_cmpx_gt_u32_e64 s1, v0
	s_cbranch_execz .LBB1_3
; %bb.1:
	s_load_dwordx4 s[0:3], s[4:5], 0x0
	v_mov_b32_e32 v1, 0
	v_lshlrev_b64 v[32:33], 2, v[0:1]
	s_waitcnt lgkmcnt(0)
	v_add_co_u32 v0, vcc_lo, s0, v32
	v_add_co_ci_u32_e64 v1, null, s1, v33, vcc_lo
	s_movk_i32 s0, 0x1000
	v_add_co_u32 v2, vcc_lo, 0x4000, v0
	v_add_co_ci_u32_e64 v3, null, 0, v1, vcc_lo
	v_add_co_u32 v4, vcc_lo, 0x8000, v0
	v_add_co_ci_u32_e64 v5, null, 0, v1, vcc_lo
	;; [unrolled: 2-line block ×15, first 2 shown]
	s_clause 0xf
	global_load_dword v64, v[0:1], off
	global_load_dword v65, v[2:3], off
	;; [unrolled: 1-line block ×16, first 2 shown]
	v_add_co_u32 v32, vcc_lo, s2, v32
	v_add_co_ci_u32_e64 v33, null, s3, v33, vcc_lo
	v_add_co_u32 v34, vcc_lo, 0x4000, v32
	v_add_co_ci_u32_e64 v35, null, 0, v33, vcc_lo
	;; [unrolled: 2-line block ×16, first 2 shown]
.LBB1_2:                                ; =>This Inner Loop Header: Depth=1
	global_load_dword v80, v[32:33], off
	s_add_i32 s0, s0, -2
	s_cmp_lg_u32 s0, 0
	s_waitcnt vmcnt(0)
	v_add_nc_u32_e32 v64, v64, v80
	global_store_dword v[0:1], v64, off
	global_load_dword v80, v[34:35], off
	s_waitcnt vmcnt(0)
	v_add_nc_u32_e32 v65, v65, v80
	global_store_dword v[2:3], v65, off
	global_load_dword v80, v[36:37], off
	;; [unrolled: 4-line block ×31, first 2 shown]
	s_waitcnt vmcnt(0)
	v_add_nc_u32_e32 v79, v79, v80
	global_store_dword v[30:31], v79, off
	s_cbranch_scc1 .LBB1_2
.LBB1_3:
	s_endpgm
	.section	.rodata,"a",@progbits
	.p2align	6, 0x0
	.amdhsa_kernel _Z26add_kernel_non_interleavedP17NON_INTERLEAVED_TPKS_j
		.amdhsa_group_segment_fixed_size 0
		.amdhsa_private_segment_fixed_size 0
		.amdhsa_kernarg_size 280
		.amdhsa_user_sgpr_count 6
		.amdhsa_user_sgpr_private_segment_buffer 1
		.amdhsa_user_sgpr_dispatch_ptr 0
		.amdhsa_user_sgpr_queue_ptr 0
		.amdhsa_user_sgpr_kernarg_segment_ptr 1
		.amdhsa_user_sgpr_dispatch_id 0
		.amdhsa_user_sgpr_flat_scratch_init 0
		.amdhsa_user_sgpr_private_segment_size 0
		.amdhsa_wavefront_size32 1
		.amdhsa_uses_dynamic_stack 0
		.amdhsa_system_sgpr_private_segment_wavefront_offset 0
		.amdhsa_system_sgpr_workgroup_id_x 1
		.amdhsa_system_sgpr_workgroup_id_y 0
		.amdhsa_system_sgpr_workgroup_id_z 0
		.amdhsa_system_sgpr_workgroup_info 0
		.amdhsa_system_vgpr_workitem_id 0
		.amdhsa_next_free_vgpr 81
		.amdhsa_next_free_sgpr 7
		.amdhsa_reserve_vcc 1
		.amdhsa_reserve_flat_scratch 0
		.amdhsa_float_round_mode_32 0
		.amdhsa_float_round_mode_16_64 0
		.amdhsa_float_denorm_mode_32 3
		.amdhsa_float_denorm_mode_16_64 3
		.amdhsa_dx10_clamp 1
		.amdhsa_ieee_mode 1
		.amdhsa_fp16_overflow 0
		.amdhsa_workgroup_processor_mode 1
		.amdhsa_memory_ordered 1
		.amdhsa_forward_progress 1
		.amdhsa_shared_vgpr_count 0
		.amdhsa_exception_fp_ieee_invalid_op 0
		.amdhsa_exception_fp_denorm_src 0
		.amdhsa_exception_fp_ieee_div_zero 0
		.amdhsa_exception_fp_ieee_overflow 0
		.amdhsa_exception_fp_ieee_underflow 0
		.amdhsa_exception_fp_ieee_inexact 0
		.amdhsa_exception_int_div_zero 0
	.end_amdhsa_kernel
	.text
.Lfunc_end1:
	.size	_Z26add_kernel_non_interleavedP17NON_INTERLEAVED_TPKS_j, .Lfunc_end1-_Z26add_kernel_non_interleavedP17NON_INTERLEAVED_TPKS_j
                                        ; -- End function
	.set _Z26add_kernel_non_interleavedP17NON_INTERLEAVED_TPKS_j.num_vgpr, 81
	.set _Z26add_kernel_non_interleavedP17NON_INTERLEAVED_TPKS_j.num_agpr, 0
	.set _Z26add_kernel_non_interleavedP17NON_INTERLEAVED_TPKS_j.numbered_sgpr, 7
	.set _Z26add_kernel_non_interleavedP17NON_INTERLEAVED_TPKS_j.num_named_barrier, 0
	.set _Z26add_kernel_non_interleavedP17NON_INTERLEAVED_TPKS_j.private_seg_size, 0
	.set _Z26add_kernel_non_interleavedP17NON_INTERLEAVED_TPKS_j.uses_vcc, 1
	.set _Z26add_kernel_non_interleavedP17NON_INTERLEAVED_TPKS_j.uses_flat_scratch, 0
	.set _Z26add_kernel_non_interleavedP17NON_INTERLEAVED_TPKS_j.has_dyn_sized_stack, 0
	.set _Z26add_kernel_non_interleavedP17NON_INTERLEAVED_TPKS_j.has_recursion, 0
	.set _Z26add_kernel_non_interleavedP17NON_INTERLEAVED_TPKS_j.has_indirect_call, 0
	.section	.AMDGPU.csdata,"",@progbits
; Kernel info:
; codeLenInByte = 1632
; TotalNumSgprs: 9
; NumVgprs: 81
; ScratchSize: 0
; MemoryBound: 0
; FloatMode: 240
; IeeeMode: 1
; LDSByteSize: 0 bytes/workgroup (compile time only)
; SGPRBlocks: 0
; VGPRBlocks: 10
; NumSGPRsForWavesPerEU: 9
; NumVGPRsForWavesPerEU: 81
; Occupancy: 10
; WaveLimiterHint : 0
; COMPUTE_PGM_RSRC2:SCRATCH_EN: 0
; COMPUTE_PGM_RSRC2:USER_SGPR: 6
; COMPUTE_PGM_RSRC2:TRAP_HANDLER: 0
; COMPUTE_PGM_RSRC2:TGID_X_EN: 1
; COMPUTE_PGM_RSRC2:TGID_Y_EN: 0
; COMPUTE_PGM_RSRC2:TGID_Z_EN: 0
; COMPUTE_PGM_RSRC2:TIDIG_COMP_CNT: 0
	.text
	.p2alignl 6, 3214868480
	.fill 48, 4, 3214868480
	.section	.AMDGPU.gpr_maximums,"",@progbits
	.set amdgpu.max_num_vgpr, 0
	.set amdgpu.max_num_agpr, 0
	.set amdgpu.max_num_sgpr, 0
	.text
	.type	__hip_cuid_e20fbb4414915bab,@object ; @__hip_cuid_e20fbb4414915bab
	.section	.bss,"aw",@nobits
	.globl	__hip_cuid_e20fbb4414915bab
__hip_cuid_e20fbb4414915bab:
	.byte	0                               ; 0x0
	.size	__hip_cuid_e20fbb4414915bab, 1

	.ident	"AMD clang version 22.0.0git (https://github.com/RadeonOpenCompute/llvm-project roc-7.2.4 26084 f58b06dce1f9c15707c5f808fd002e18c2accf7e)"
	.section	".note.GNU-stack","",@progbits
	.addrsig
	.addrsig_sym __hip_cuid_e20fbb4414915bab
	.amdgpu_metadata
---
amdhsa.kernels:
  - .args:
      - .address_space:  global
        .offset:         0
        .size:           8
        .value_kind:     global_buffer
      - .address_space:  global
        .offset:         8
        .size:           8
        .value_kind:     global_buffer
      - .offset:         16
        .size:           4
        .value_kind:     by_value
      - .offset:         24
        .size:           4
        .value_kind:     hidden_block_count_x
      - .offset:         28
        .size:           4
        .value_kind:     hidden_block_count_y
      - .offset:         32
        .size:           4
        .value_kind:     hidden_block_count_z
      - .offset:         36
        .size:           2
        .value_kind:     hidden_group_size_x
      - .offset:         38
        .size:           2
        .value_kind:     hidden_group_size_y
      - .offset:         40
        .size:           2
        .value_kind:     hidden_group_size_z
      - .offset:         42
        .size:           2
        .value_kind:     hidden_remainder_x
      - .offset:         44
        .size:           2
        .value_kind:     hidden_remainder_y
      - .offset:         46
        .size:           2
        .value_kind:     hidden_remainder_z
      - .offset:         64
        .size:           8
        .value_kind:     hidden_global_offset_x
      - .offset:         72
        .size:           8
        .value_kind:     hidden_global_offset_y
      - .offset:         80
        .size:           8
        .value_kind:     hidden_global_offset_z
      - .offset:         88
        .size:           2
        .value_kind:     hidden_grid_dims
    .group_segment_fixed_size: 0
    .kernarg_segment_align: 8
    .kernarg_segment_size: 280
    .language:       OpenCL C
    .language_version:
      - 2
      - 0
    .max_flat_workgroup_size: 1024
    .name:           _Z22add_kernel_interleavedP13INTERLEAVED_TPKS_j
    .private_segment_fixed_size: 0
    .sgpr_count:     9
    .sgpr_spill_count: 0
    .symbol:         _Z22add_kernel_interleavedP13INTERLEAVED_TPKS_j.kd
    .uniform_work_group_size: 1
    .uses_dynamic_stack: false
    .vgpr_count:     36
    .vgpr_spill_count: 0
    .wavefront_size: 32
    .workgroup_processor_mode: 1
  - .args:
      - .address_space:  global
        .offset:         0
        .size:           8
        .value_kind:     global_buffer
      - .address_space:  global
        .offset:         8
        .size:           8
        .value_kind:     global_buffer
      - .offset:         16
        .size:           4
        .value_kind:     by_value
      - .offset:         24
        .size:           4
        .value_kind:     hidden_block_count_x
      - .offset:         28
        .size:           4
        .value_kind:     hidden_block_count_y
      - .offset:         32
        .size:           4
        .value_kind:     hidden_block_count_z
      - .offset:         36
        .size:           2
        .value_kind:     hidden_group_size_x
      - .offset:         38
        .size:           2
        .value_kind:     hidden_group_size_y
      - .offset:         40
        .size:           2
        .value_kind:     hidden_group_size_z
      - .offset:         42
        .size:           2
        .value_kind:     hidden_remainder_x
      - .offset:         44
        .size:           2
        .value_kind:     hidden_remainder_y
      - .offset:         46
        .size:           2
        .value_kind:     hidden_remainder_z
      - .offset:         64
        .size:           8
        .value_kind:     hidden_global_offset_x
      - .offset:         72
        .size:           8
        .value_kind:     hidden_global_offset_y
      - .offset:         80
        .size:           8
        .value_kind:     hidden_global_offset_z
      - .offset:         88
        .size:           2
        .value_kind:     hidden_grid_dims
    .group_segment_fixed_size: 0
    .kernarg_segment_align: 8
    .kernarg_segment_size: 280
    .language:       OpenCL C
    .language_version:
      - 2
      - 0
    .max_flat_workgroup_size: 1024
    .name:           _Z26add_kernel_non_interleavedP17NON_INTERLEAVED_TPKS_j
    .private_segment_fixed_size: 0
    .sgpr_count:     9
    .sgpr_spill_count: 0
    .symbol:         _Z26add_kernel_non_interleavedP17NON_INTERLEAVED_TPKS_j.kd
    .uniform_work_group_size: 1
    .uses_dynamic_stack: false
    .vgpr_count:     81
    .vgpr_spill_count: 0
    .wavefront_size: 32
    .workgroup_processor_mode: 1
amdhsa.target:   amdgcn-amd-amdhsa--gfx1030
amdhsa.version:
  - 1
  - 2
...

	.end_amdgpu_metadata
